;; amdgpu-corpus repo=ROCm/rocFFT kind=compiled arch=gfx906 opt=O3
	.text
	.amdgcn_target "amdgcn-amd-amdhsa--gfx906"
	.amdhsa_code_object_version 6
	.protected	bluestein_single_back_len55_dim1_sp_op_CI_CI ; -- Begin function bluestein_single_back_len55_dim1_sp_op_CI_CI
	.globl	bluestein_single_back_len55_dim1_sp_op_CI_CI
	.p2align	8
	.type	bluestein_single_back_len55_dim1_sp_op_CI_CI,@function
bluestein_single_back_len55_dim1_sp_op_CI_CI: ; @bluestein_single_back_len55_dim1_sp_op_CI_CI
; %bb.0:
	v_mul_u32_u24_e32 v1, 0x1746, v0
	s_load_dwordx4 s[12:15], s[4:5], 0x28
	v_lshrrev_b32_e32 v1, 16, v1
	v_mad_u64_u32 v[42:43], s[0:1], s6, 23, v[1:2]
	v_mov_b32_e32 v43, 0
	s_waitcnt lgkmcnt(0)
	v_cmp_gt_u64_e32 vcc, s[12:13], v[42:43]
	s_and_saveexec_b64 s[0:1], vcc
	s_cbranch_execz .LBB0_10
; %bb.1:
	s_load_dwordx4 s[0:3], s[4:5], 0x18
	s_load_dwordx4 s[8:11], s[4:5], 0x0
	v_mul_lo_u16_e32 v1, 11, v1
	v_sub_u16_e32 v55, v0, v1
	v_lshlrev_b32_e32 v58, 3, v55
	s_waitcnt lgkmcnt(0)
	s_load_dwordx4 s[16:19], s[0:1], 0x0
                                        ; implicit-def: $vgpr32
                                        ; implicit-def: $vgpr53
                                        ; implicit-def: $vgpr36
	s_waitcnt lgkmcnt(0)
	v_mad_u64_u32 v[0:1], s[0:1], s18, v42, 0
	v_mad_u64_u32 v[2:3], s[0:1], s16, v55, 0
	s_load_dwordx2 s[4:5], s[4:5], 0x38
	v_mad_u64_u32 v[4:5], s[0:1], s19, v42, v[1:2]
	v_mad_u64_u32 v[5:6], s[0:1], s17, v55, v[3:4]
	v_mov_b32_e32 v1, v4
	v_lshlrev_b64 v[0:1], 3, v[0:1]
	v_mov_b32_e32 v6, s15
	v_mov_b32_e32 v3, v5
	v_add_co_u32_e32 v4, vcc, s14, v0
	v_addc_co_u32_e32 v5, vcc, v6, v1, vcc
	v_lshlrev_b64 v[0:1], 3, v[2:3]
	s_mul_i32 s0, s17, 0x58
	v_add_co_u32_e32 v0, vcc, v4, v0
	s_mul_hi_u32 s1, s16, 0x58
	v_addc_co_u32_e32 v1, vcc, v5, v1, vcc
	s_add_i32 s0, s1, s0
	s_mul_i32 s1, s16, 0x58
	global_load_dwordx2 v[2:3], v[0:1], off
	v_mov_b32_e32 v4, s0
	v_add_co_u32_e32 v0, vcc, s1, v0
	v_addc_co_u32_e32 v1, vcc, v1, v4, vcc
	global_load_dwordx2 v[4:5], v[0:1], off
	v_mov_b32_e32 v6, s0
	v_add_co_u32_e32 v0, vcc, s1, v0
	v_addc_co_u32_e32 v1, vcc, v1, v6, vcc
	v_mov_b32_e32 v7, s0
	v_add_co_u32_e32 v6, vcc, s1, v0
	v_addc_co_u32_e32 v7, vcc, v1, v7, vcc
	global_load_dwordx2 v[51:52], v58, s[8:9]
	global_load_dwordx2 v[49:50], v58, s[8:9] offset:88
	global_load_dwordx2 v[47:48], v58, s[8:9] offset:176
	global_load_dwordx2 v[8:9], v[0:1], off
	global_load_dwordx2 v[10:11], v[6:7], off
	global_load_dwordx2 v[45:46], v58, s[8:9] offset:264
	v_mov_b32_e32 v1, s0
	v_add_co_u32_e32 v0, vcc, s1, v6
	v_addc_co_u32_e32 v1, vcc, v7, v1, vcc
	global_load_dwordx2 v[43:44], v58, s[8:9] offset:352
	global_load_dwordx2 v[6:7], v[0:1], off
	s_mov_b32 s0, 0xb21642c9
	v_mul_hi_u32 v0, v42, s0
	s_load_dwordx4 s[0:3], s[2:3], 0x0
	v_add_co_u32_e32 v40, vcc, s8, v58
	v_lshrrev_b32_e32 v0, 4, v0
	v_mul_lo_u32 v0, v0, 23
	v_sub_u32_e32 v0, v42, v0
	v_mul_u32_u24_e32 v0, 55, v0
	v_lshlrev_b32_e32 v57, 3, v0
	v_add_u32_e32 v56, v58, v57
	s_waitcnt vmcnt(7)
	v_mul_f32_e32 v0, v3, v52
	v_mul_f32_e32 v1, v2, v52
	v_fmac_f32_e32 v0, v2, v51
	v_fma_f32 v1, v3, v51, -v1
	s_waitcnt vmcnt(6)
	v_mul_f32_e32 v2, v5, v50
	v_mul_f32_e32 v3, v4, v50
	v_fmac_f32_e32 v2, v4, v49
	v_fma_f32 v3, v5, v49, -v3
	s_waitcnt vmcnt(4)
	v_mul_f32_e32 v4, v9, v48
	v_mul_f32_e32 v5, v8, v48
	ds_write2_b64 v56, v[0:1], v[2:3] offset1:11
	s_waitcnt vmcnt(2)
	v_mul_f32_e32 v0, v11, v46
	v_mul_f32_e32 v1, v10, v46
	s_waitcnt vmcnt(0)
	v_mul_f32_e32 v2, v7, v44
	v_mul_f32_e32 v3, v6, v44
	v_fmac_f32_e32 v4, v8, v47
	v_fma_f32 v5, v9, v47, -v5
	v_fmac_f32_e32 v0, v10, v45
	v_fma_f32 v1, v11, v45, -v1
	;; [unrolled: 2-line block ×3, first 2 shown]
	ds_write2_b64 v56, v[4:5], v[0:1] offset0:22 offset1:33
	ds_write_b64 v56, v[2:3] offset:352
	s_waitcnt lgkmcnt(0)
	s_barrier
	ds_read2_b64 v[0:3], v56 offset1:11
	ds_read2_b64 v[4:7], v56 offset0:22 offset1:33
	ds_read_b64 v[8:9], v56 offset:352
	s_waitcnt lgkmcnt(0)
	s_barrier
	v_add_f32_e32 v10, v0, v2
	v_add_f32_e32 v11, v4, v6
	;; [unrolled: 1-line block ×6, first 2 shown]
	v_fma_f32 v28, -0.5, v11, v0
	v_fma_f32 v26, -0.5, v12, v0
	v_add_f32_e32 v0, v10, v4
	v_sub_f32_e32 v15, v3, v9
	v_fma_f32 v29, -0.5, v13, v1
	v_fma_f32 v27, -0.5, v14, v1
	v_add_f32_e32 v0, v0, v6
	v_add_f32_e32 v1, v18, v5
	v_mov_b32_e32 v22, v28
	v_sub_f32_e32 v16, v2, v4
	v_sub_f32_e32 v19, v3, v5
	;; [unrolled: 1-line block ×3, first 2 shown]
	v_add_f32_e32 v1, v1, v7
	v_add_f32_e32 v20, v0, v8
	v_sub_f32_e32 v0, v8, v6
	v_sub_f32_e32 v5, v5, v7
	v_fmac_f32_e32 v22, 0x3f737871, v15
	v_fmac_f32_e32 v28, 0xbf737871, v15
	v_mov_b32_e32 v24, v26
	v_sub_f32_e32 v17, v4, v2
	v_sub_f32_e32 v2, v2, v8
	v_add_f32_e32 v21, v1, v9
	v_sub_f32_e32 v1, v6, v8
	v_add_f32_e32 v0, v16, v0
	v_fmac_f32_e32 v22, 0x3f167918, v5
	v_fmac_f32_e32 v28, 0xbf167918, v5
	;; [unrolled: 1-line block ×4, first 2 shown]
	v_mov_b32_e32 v23, v29
	v_sub_f32_e32 v8, v9, v7
	v_sub_f32_e32 v4, v4, v6
	v_fmac_f32_e32 v22, 0x3e9e377a, v0
	v_fmac_f32_e32 v28, 0x3e9e377a, v0
	v_add_f32_e32 v0, v17, v1
	v_fmac_f32_e32 v24, 0x3f167918, v15
	v_fmac_f32_e32 v26, 0xbf167918, v15
	;; [unrolled: 1-line block ×4, first 2 shown]
	v_mov_b32_e32 v25, v27
	v_sub_f32_e32 v9, v7, v9
	v_fmac_f32_e32 v24, 0x3e9e377a, v0
	v_fmac_f32_e32 v26, 0x3e9e377a, v0
	;; [unrolled: 1-line block ×3, first 2 shown]
	v_add_f32_e32 v0, v19, v8
	v_fmac_f32_e32 v29, 0x3f167918, v4
	v_fmac_f32_e32 v25, 0x3f737871, v4
	;; [unrolled: 1-line block ×3, first 2 shown]
	v_mov_b32_e32 v6, s9
	v_fmac_f32_e32 v23, 0x3e9e377a, v0
	v_fmac_f32_e32 v29, 0x3e9e377a, v0
	;; [unrolled: 1-line block ×3, first 2 shown]
	v_add_f32_e32 v0, v3, v9
	v_fmac_f32_e32 v27, 0x3f167918, v2
	v_addc_co_u32_e32 v41, vcc, 0, v6, vcc
	v_fmac_f32_e32 v25, 0x3e9e377a, v0
	v_fmac_f32_e32 v27, 0x3e9e377a, v0
	v_mul_lo_u16_e32 v0, 5, v55
	v_lshl_add_u32 v59, v0, 3, v57
	v_cmp_gt_u16_e32 vcc, 5, v55
	ds_write2_b64 v59, v[20:21], v[22:23] offset1:1
	ds_write2_b64 v59, v[24:25], v[26:27] offset0:2 offset1:3
	ds_write_b64 v59, v[28:29] offset:32
	s_waitcnt lgkmcnt(0)
	s_barrier
	s_and_saveexec_b64 s[6:7], vcc
	s_cbranch_execz .LBB0_3
; %bb.2:
	ds_read2_b64 v[20:23], v56 offset1:5
	ds_read2_b64 v[24:27], v56 offset0:10 offset1:15
	ds_read2_b64 v[28:31], v56 offset0:20 offset1:25
	ds_read2_b64 v[32:35], v56 offset0:30 offset1:35
	ds_read2_b64 v[36:39], v56 offset0:40 offset1:45
	ds_read_b64 v[53:54], v56 offset:400
.LBB0_3:
	s_or_b64 exec, exec, s[6:7]
	s_movk_i32 s6, 0xcd
	v_mul_lo_u16_sdwa v0, v55, s6 dst_sel:DWORD dst_unused:UNUSED_PAD src0_sel:BYTE_0 src1_sel:DWORD
	v_lshrrev_b16_e32 v0, 10, v0
	v_mul_lo_u16_e32 v0, 5, v0
	v_sub_u16_e32 v0, v55, v0
	v_mul_lo_u16_e32 v0, 10, v0
	v_and_b32_e32 v0, 0xfe, v0
	v_lshlrev_b32_e32 v60, 3, v0
	global_load_dwordx4 v[12:15], v60, s[10:11]
	global_load_dwordx4 v[8:11], v60, s[10:11] offset:16
	global_load_dwordx4 v[0:3], v60, s[10:11] offset:32
	;; [unrolled: 1-line block ×4, first 2 shown]
	s_mov_b32 s11, 0x3f575c64
	s_mov_b32 s7, 0x3ed4b147
	;; [unrolled: 1-line block ×5, first 2 shown]
	s_waitcnt vmcnt(4) lgkmcnt(5)
	v_mul_f32_e32 v60, v22, v13
	s_waitcnt lgkmcnt(4)
	v_mul_f32_e32 v61, v24, v15
	v_fmac_f32_e32 v60, v23, v12
	v_mul_f32_e32 v69, v23, v13
	s_waitcnt vmcnt(0) lgkmcnt(0)
	v_mul_f32_e32 v70, v53, v19
	v_mul_f32_e32 v68, v38, v17
	v_fmac_f32_e32 v70, v54, v18
	v_mul_f32_e32 v66, v34, v5
	v_mul_f32_e32 v77, v37, v7
	;; [unrolled: 1-line block ×5, first 2 shown]
	v_fmac_f32_e32 v61, v25, v14
	v_fmac_f32_e32 v68, v39, v16
	v_sub_f32_e32 v23, v60, v70
	v_mul_f32_e32 v71, v25, v15
	v_mul_f32_e32 v76, v35, v5
	v_fma_f32 v69, v22, v12, -v69
	v_fmac_f32_e32 v66, v35, v4
	v_fma_f32 v35, v36, v6, -v77
	v_fmac_f32_e32 v67, v37, v6
	v_fma_f32 v36, v38, v16, -v78
	v_fma_f32 v37, v53, v18, -v79
	v_mul_f32_e32 v38, 0xbf0a6770, v23
	v_sub_f32_e32 v93, v61, v68
	v_fma_f32 v71, v24, v14, -v71
	v_add_f32_e32 v82, v69, v37
	v_sub_f32_e32 v22, v69, v37
	v_mov_b32_e32 v24, v38
	v_mul_f32_e32 v80, 0xbf68dda4, v93
	v_add_f32_e32 v83, v60, v70
	v_mul_f32_e32 v39, 0xbf0a6770, v22
	v_fmac_f32_e32 v24, 0x3f575c64, v82
	v_add_f32_e32 v86, v71, v36
	v_sub_f32_e32 v90, v71, v36
	v_mov_b32_e32 v84, v80
	v_mul_f32_e32 v74, v31, v1
	v_fma_f32 v25, v83, s11, -v39
	v_add_f32_e32 v24, v20, v24
	v_add_f32_e32 v91, v61, v68
	v_mul_f32_e32 v81, 0xbf68dda4, v90
	v_fmac_f32_e32 v84, 0x3ed4b147, v86
	v_mul_f32_e32 v72, v27, v9
	v_mul_f32_e32 v64, v30, v1
	v_fma_f32 v30, v30, v0, -v74
	v_mul_f32_e32 v74, 0xbf68dda4, v23
	v_add_f32_e32 v25, v21, v25
	v_add_f32_e32 v24, v84, v24
	v_fma_f32 v84, v91, s7, -v81
	v_mul_f32_e32 v62, v26, v9
	v_mul_f32_e32 v75, v33, v3
	v_fma_f32 v72, v26, v8, -v72
	v_mov_b32_e32 v26, v74
	v_add_f32_e32 v25, v84, v25
	v_mul_f32_e32 v84, 0xbf4178ce, v93
	v_fmac_f32_e32 v64, v31, v0
	v_fma_f32 v31, v32, v2, -v75
	v_mul_f32_e32 v75, 0xbf68dda4, v22
	v_fmac_f32_e32 v26, 0x3ed4b147, v82
	v_mov_b32_e32 v87, v84
	v_fmac_f32_e32 v62, v27, v8
	v_fma_f32 v27, v83, s7, -v75
	v_add_f32_e32 v26, v20, v26
	v_mul_f32_e32 v85, 0xbf4178ce, v90
	v_fmac_f32_e32 v87, 0xbf27a4f4, v86
	v_mul_f32_e32 v73, v29, v11
	v_fma_f32 v34, v34, v4, -v76
	v_mul_f32_e32 v76, 0xbf7d64f0, v23
	v_add_f32_e32 v27, v21, v27
	v_add_f32_e32 v26, v87, v26
	v_fma_f32 v87, v91, s10, -v85
	v_mul_f32_e32 v63, v28, v11
	v_fma_f32 v73, v28, v10, -v73
	v_mov_b32_e32 v28, v76
	v_add_f32_e32 v27, v87, v27
	v_mul_f32_e32 v87, 0x3e903f40, v93
	v_mul_f32_e32 v77, 0xbf7d64f0, v22
	v_fmac_f32_e32 v28, 0xbe11bafb, v82
	v_mov_b32_e32 v89, v87
	v_fmac_f32_e32 v63, v29, v10
	v_fma_f32 v29, v83, s6, -v77
	v_add_f32_e32 v28, v20, v28
	v_mul_f32_e32 v88, 0x3e903f40, v90
	v_fmac_f32_e32 v89, 0xbf75a155, v86
	v_mul_f32_e32 v78, 0xbf4178ce, v23
	v_add_f32_e32 v29, v21, v29
	v_add_f32_e32 v28, v89, v28
	v_fma_f32 v89, v91, s12, -v88
	v_mul_f32_e32 v65, v32, v3
	v_mov_b32_e32 v32, v78
	v_add_f32_e32 v29, v89, v29
	v_mul_f32_e32 v89, 0x3f7d64f0, v93
	v_mul_f32_e32 v79, 0xbf4178ce, v22
	v_fmac_f32_e32 v32, 0xbf27a4f4, v82
	v_mov_b32_e32 v94, v89
	v_fmac_f32_e32 v65, v33, v2
	v_mul_f32_e32 v23, 0xbe903f40, v23
	v_fma_f32 v33, v83, s10, -v79
	v_add_f32_e32 v32, v20, v32
	v_mul_f32_e32 v92, 0x3f7d64f0, v90
	v_fmac_f32_e32 v94, 0xbe11bafb, v86
	v_mul_f32_e32 v22, 0xbe903f40, v22
	v_fma_f32 v53, v82, s12, -v23
	v_add_f32_e32 v33, v21, v33
	v_add_f32_e32 v32, v94, v32
	v_fma_f32 v94, v91, s6, -v92
	v_mul_f32_e32 v93, 0x3f0a6770, v93
	v_mov_b32_e32 v54, v22
	v_add_f32_e32 v53, v20, v53
	v_fma_f32 v22, v83, s12, -v22
	v_add_f32_e32 v33, v94, v33
	v_fma_f32 v94, v86, s11, -v93
	v_mul_f32_e32 v90, 0x3f0a6770, v90
	v_fmac_f32_e32 v54, 0xbf75a155, v83
	v_add_f32_e32 v22, v21, v22
	v_add_f32_e32 v53, v94, v53
	v_mov_b32_e32 v94, v90
	v_fma_f32 v90, v91, s11, -v90
	v_sub_f32_e32 v102, v62, v67
	v_add_f32_e32 v54, v21, v54
	v_fmac_f32_e32 v23, 0xbf75a155, v82
	v_fmac_f32_e32 v94, 0x3f575c64, v91
	v_add_f32_e32 v22, v90, v22
	v_mul_f32_e32 v90, 0xbf7d64f0, v102
	v_add_f32_e32 v23, v20, v23
	v_add_f32_e32 v54, v94, v54
	v_fmac_f32_e32 v93, 0x3f575c64, v86
	v_add_f32_e32 v96, v72, v35
	v_sub_f32_e32 v100, v72, v35
	v_mov_b32_e32 v94, v90
	v_add_f32_e32 v23, v93, v23
	v_add_f32_e32 v101, v62, v67
	v_mul_f32_e32 v93, 0xbf7d64f0, v100
	v_fmac_f32_e32 v94, 0xbe11bafb, v96
	v_add_f32_e32 v24, v94, v24
	v_fma_f32 v94, v101, s6, -v93
	v_add_f32_e32 v25, v94, v25
	v_mul_f32_e32 v94, 0x3e903f40, v102
	v_mov_b32_e32 v97, v94
	v_mul_f32_e32 v95, 0x3e903f40, v100
	v_fmac_f32_e32 v97, 0xbf75a155, v96
	v_add_f32_e32 v26, v97, v26
	v_fma_f32 v97, v101, s12, -v95
	v_add_f32_e32 v27, v97, v27
	v_mul_f32_e32 v97, 0x3f68dda4, v102
	v_mov_b32_e32 v99, v97
	;; [unrolled: 7-line block ×3, first 2 shown]
	v_mul_f32_e32 v103, 0xbf0a6770, v100
	v_fmac_f32_e32 v104, 0x3f575c64, v96
	v_add_f32_e32 v32, v104, v32
	v_fma_f32 v104, v101, s11, -v103
	v_mul_f32_e32 v102, 0xbf4178ce, v102
	v_add_f32_e32 v33, v104, v33
	v_fma_f32 v104, v96, s10, -v102
	v_mul_f32_e32 v100, 0xbf4178ce, v100
	v_add_f32_e32 v53, v104, v53
	v_mov_b32_e32 v104, v100
	v_fma_f32 v100, v101, s10, -v100
	v_sub_f32_e32 v112, v63, v66
	v_fmac_f32_e32 v104, 0xbf27a4f4, v101
	v_add_f32_e32 v22, v100, v22
	v_mul_f32_e32 v100, 0xbf4178ce, v112
	v_add_f32_e32 v54, v104, v54
	v_fmac_f32_e32 v102, 0xbf27a4f4, v96
	v_add_f32_e32 v110, v73, v34
	v_sub_f32_e32 v108, v73, v34
	v_mov_b32_e32 v104, v100
	v_add_f32_e32 v23, v102, v23
	v_add_f32_e32 v111, v63, v66
	v_mul_f32_e32 v102, 0xbf4178ce, v108
	v_fmac_f32_e32 v104, 0xbf27a4f4, v110
	v_add_f32_e32 v24, v104, v24
	v_fma_f32 v104, v111, s10, -v102
	v_add_f32_e32 v25, v104, v25
	v_mul_f32_e32 v104, 0x3f7d64f0, v112
	v_mov_b32_e32 v106, v104
	v_mul_f32_e32 v105, 0x3f7d64f0, v108
	v_fmac_f32_e32 v106, 0xbe11bafb, v110
	v_add_f32_e32 v26, v106, v26
	v_fma_f32 v106, v111, s6, -v105
	v_add_f32_e32 v27, v106, v27
	v_mul_f32_e32 v106, 0xbf0a6770, v112
	v_mov_b32_e32 v109, v106
	;; [unrolled: 7-line block ×3, first 2 shown]
	v_mul_f32_e32 v113, 0xbe903f40, v108
	v_fmac_f32_e32 v114, 0xbf75a155, v110
	v_add_f32_e32 v32, v114, v32
	v_fma_f32 v114, v111, s12, -v113
	v_mul_f32_e32 v112, 0x3f68dda4, v112
	v_add_f32_e32 v33, v114, v33
	v_fma_f32 v114, v110, s7, -v112
	v_add_f32_e32 v122, v114, v53
	v_mul_f32_e32 v53, 0x3f68dda4, v108
	v_mov_b32_e32 v108, v53
	v_fmac_f32_e32 v108, 0x3ed4b147, v111
	v_fmac_f32_e32 v112, 0x3ed4b147, v110
	v_sub_f32_e32 v127, v64, v65
	v_add_f32_e32 v123, v108, v54
	v_add_f32_e32 v124, v112, v23
	v_fma_f32 v23, v111, s7, -v53
	v_mul_f32_e32 v108, 0xbe903f40, v127
	v_add_f32_e32 v125, v23, v22
	v_add_f32_e32 v115, v30, v31
	v_sub_f32_e32 v126, v30, v31
	v_mov_b32_e32 v22, v108
	v_add_f32_e32 v116, v64, v65
	v_mul_f32_e32 v112, 0xbe903f40, v126
	v_fmac_f32_e32 v22, 0xbf75a155, v115
	v_add_f32_e32 v53, v22, v24
	v_fma_f32 v22, v116, s12, -v112
	v_mul_f32_e32 v114, 0x3f0a6770, v127
	v_add_f32_e32 v54, v22, v25
	v_mov_b32_e32 v22, v114
	v_mul_f32_e32 v117, 0x3f0a6770, v126
	v_fmac_f32_e32 v22, 0x3f575c64, v115
	v_add_f32_e32 v24, v22, v26
	v_fma_f32 v22, v116, s11, -v117
	v_mul_f32_e32 v118, 0xbf4178ce, v127
	v_mul_f32_e32 v120, 0x3f68dda4, v127
	v_add_f32_e32 v25, v22, v27
	v_mov_b32_e32 v22, v118
	v_mov_b32_e32 v26, v120
	v_mul_f32_e32 v119, 0xbf4178ce, v126
	v_fmac_f32_e32 v22, 0xbf27a4f4, v115
	v_mul_f32_e32 v121, 0x3f68dda4, v126
	v_fmac_f32_e32 v26, 0x3ed4b147, v115
	v_add_f32_e32 v22, v22, v28
	v_fma_f32 v23, v116, s10, -v119
	v_add_f32_e32 v28, v26, v32
	v_fma_f32 v26, v116, s7, -v121
	v_add_f32_e32 v23, v23, v29
	v_add_f32_e32 v29, v26, v33
	v_mul_f32_e32 v26, 0xbf7d64f0, v127
	v_fma_f32 v27, v115, s6, -v26
	v_add_f32_e32 v32, v27, v122
	v_mul_f32_e32 v27, 0xbf7d64f0, v126
	v_mov_b32_e32 v33, v27
	v_fmac_f32_e32 v33, 0xbe11bafb, v116
	v_fmac_f32_e32 v26, 0xbe11bafb, v115
	v_fma_f32 v27, v116, s6, -v27
	v_add_f32_e32 v33, v33, v123
	v_add_f32_e32 v26, v26, v124
	;; [unrolled: 1-line block ×3, first 2 shown]
	s_and_saveexec_b64 s[6:7], vcc
	s_cbranch_execz .LBB0_5
; %bb.4:
	v_mul_f32_e32 v122, 0x3f575c64, v82
	v_mul_f32_e32 v124, 0x3ed4b147, v82
	;; [unrolled: 1-line block ×12, first 2 shown]
	v_sub_f32_e32 v78, v82, v78
	v_mul_f32_e32 v129, 0x3ed4b147, v91
	v_mul_f32_e32 v131, 0xbf27a4f4, v91
	v_mul_f32_e32 v133, 0xbf75a155, v91
	v_mul_f32_e32 v91, 0xbe11bafb, v91
	v_mul_f32_e32 v134, 0xbe11bafb, v96
	v_mul_f32_e32 v136, 0xbf75a155, v96
	v_mul_f32_e32 v138, 0x3ed4b147, v96
	v_mul_f32_e32 v96, 0x3f575c64, v96
	v_add_f32_e32 v79, v79, v83
	v_add_f32_e32 v78, v20, v78
	v_sub_f32_e32 v82, v86, v89
	v_mul_f32_e32 v140, 0xbf27a4f4, v110
	v_mul_f32_e32 v142, 0xbe11bafb, v110
	;; [unrolled: 1-line block ×4, first 2 shown]
	v_add_f32_e32 v91, v92, v91
	v_add_f32_e32 v79, v21, v79
	v_add_f32_e32 v78, v82, v78
	v_sub_f32_e32 v82, v96, v99
	v_mul_f32_e32 v146, 0xbf75a155, v115
	v_mul_f32_e32 v83, 0x3f575c64, v115
	v_add_f32_e32 v79, v91, v79
	v_mul_f32_e32 v91, 0xbf27a4f4, v115
	v_mul_f32_e32 v115, 0x3ed4b147, v115
	v_add_f32_e32 v78, v82, v78
	v_sub_f32_e32 v82, v110, v109
	v_add_f32_e32 v78, v82, v78
	v_sub_f32_e32 v82, v115, v120
	v_add_f32_e32 v77, v77, v127
	v_mul_f32_e32 v139, 0x3ed4b147, v101
	v_add_f32_e32 v78, v82, v78
	v_add_f32_e32 v77, v21, v77
	;; [unrolled: 1-line block ×3, first 2 shown]
	v_mul_f32_e32 v135, 0xbe11bafb, v101
	v_mul_f32_e32 v137, 0xbf75a155, v101
	;; [unrolled: 1-line block ×4, first 2 shown]
	v_add_f32_e32 v77, v82, v77
	v_add_f32_e32 v82, v98, v139
	;; [unrolled: 1-line block ×3, first 2 shown]
	v_mul_f32_e32 v103, 0xbf27a4f4, v116
	v_add_f32_e32 v77, v82, v77
	v_add_f32_e32 v82, v107, v145
	v_add_f32_e32 v77, v82, v77
	v_add_f32_e32 v82, v119, v103
	v_sub_f32_e32 v76, v126, v76
	v_add_f32_e32 v77, v82, v77
	v_add_f32_e32 v76, v20, v76
	v_sub_f32_e32 v82, v132, v87
	v_add_f32_e32 v76, v82, v76
	v_sub_f32_e32 v82, v138, v97
	;; [unrolled: 2-line block ×5, first 2 shown]
	v_add_f32_e32 v75, v21, v75
	v_add_f32_e32 v74, v20, v74
	;; [unrolled: 1-line block ×7, first 2 shown]
	v_sub_f32_e32 v82, v91, v118
	v_add_f32_e32 v21, v21, v61
	v_add_f32_e32 v20, v20, v71
	;; [unrolled: 1-line block ×6, first 2 shown]
	v_mul_f32_e32 v143, 0xbe11bafb, v111
	v_add_f32_e32 v75, v82, v75
	v_add_f32_e32 v82, v95, v137
	;; [unrolled: 1-line block ×4, first 2 shown]
	v_mul_f32_e32 v92, 0x3f575c64, v116
	v_add_f32_e32 v75, v82, v75
	v_add_f32_e32 v82, v105, v143
	;; [unrolled: 1-line block ×9, first 2 shown]
	v_sub_f32_e32 v82, v130, v84
	v_add_f32_e32 v81, v81, v129
	v_sub_f32_e32 v80, v128, v80
	v_add_f32_e32 v21, v21, v66
	v_add_f32_e32 v20, v20, v34
	v_mul_f32_e32 v141, 0xbf27a4f4, v111
	v_add_f32_e32 v74, v82, v74
	v_sub_f32_e32 v82, v136, v94
	v_add_f32_e32 v39, v81, v39
	v_add_f32_e32 v81, v93, v135
	v_add_f32_e32 v38, v80, v38
	v_sub_f32_e32 v80, v134, v90
	v_add_f32_e32 v21, v21, v67
	v_add_f32_e32 v20, v20, v35
	v_mul_f32_e32 v111, 0xbf75a155, v111
	v_mul_f32_e32 v147, 0xbf75a155, v116
	v_add_f32_e32 v74, v82, v74
	v_sub_f32_e32 v82, v142, v104
	v_add_f32_e32 v39, v81, v39
	v_add_f32_e32 v81, v102, v141
	v_add_f32_e32 v38, v80, v38
	v_sub_f32_e32 v80, v140, v100
	v_add_f32_e32 v21, v21, v68
	v_add_f32_e32 v20, v20, v36
	v_mul_f32_e32 v116, 0x3ed4b147, v116
	v_add_f32_e32 v79, v101, v79
	v_add_f32_e32 v101, v113, v111
	;; [unrolled: 1-line block ×3, first 2 shown]
	v_sub_f32_e32 v82, v83, v114
	v_add_f32_e32 v39, v81, v39
	v_add_f32_e32 v81, v112, v147
	;; [unrolled: 1-line block ×3, first 2 shown]
	v_sub_f32_e32 v80, v146, v108
	v_add_f32_e32 v21, v21, v70
	v_add_f32_e32 v20, v20, v37
	;; [unrolled: 1-line block ×7, first 2 shown]
	ds_write_b64 v56, v[20:21]
	v_lshl_add_u32 v20, v55, 3, v57
	v_add_f32_e32 v79, v101, v79
	ds_write2_b64 v20, v[38:39], v[74:75] offset0:5 offset1:10
	ds_write2_b64 v20, v[76:77], v[78:79] offset0:15 offset1:20
	ds_write2_b64 v20, v[32:33], v[26:27] offset0:25 offset1:30
	ds_write2_b64 v20, v[28:29], v[22:23] offset0:35 offset1:40
	ds_write2_b64 v20, v[24:25], v[53:54] offset0:45 offset1:50
.LBB0_5:
	s_or_b64 exec, exec, s[6:7]
	s_waitcnt lgkmcnt(0)
	s_barrier
	global_load_dwordx2 v[20:21], v[40:41], off offset:440
	s_add_u32 s6, s8, 0x1b8
	s_addc_u32 s7, s9, 0
	global_load_dwordx2 v[30:31], v58, s[6:7] offset:88
	global_load_dwordx2 v[38:39], v58, s[6:7] offset:176
	;; [unrolled: 1-line block ×4, first 2 shown]
	ds_read2_b64 v[34:37], v56 offset1:11
	s_waitcnt vmcnt(4) lgkmcnt(0)
	v_mul_f32_e32 v58, v35, v21
	v_mul_f32_e32 v63, v34, v21
	v_fma_f32 v62, v34, v20, -v58
	v_fmac_f32_e32 v63, v35, v20
	s_waitcnt vmcnt(3)
	v_mul_f32_e32 v20, v37, v31
	v_mul_f32_e32 v21, v36, v31
	v_fma_f32 v20, v36, v30, -v20
	v_fmac_f32_e32 v21, v37, v30
	ds_write2_b64 v56, v[62:63], v[20:21] offset1:11
	ds_read2_b64 v[34:37], v56 offset0:22 offset1:33
	ds_read_b64 v[20:21], v56 offset:352
	s_waitcnt vmcnt(2) lgkmcnt(1)
	v_mul_f32_e32 v30, v35, v39
	v_mul_f32_e32 v31, v34, v39
	s_waitcnt vmcnt(1)
	v_mul_f32_e32 v58, v37, v41
	v_mul_f32_e32 v39, v36, v41
	s_waitcnt vmcnt(0) lgkmcnt(0)
	v_mul_f32_e32 v62, v21, v61
	v_mul_f32_e32 v41, v20, v61
	v_fma_f32 v30, v34, v38, -v30
	v_fmac_f32_e32 v31, v35, v38
	v_fma_f32 v38, v36, v40, -v58
	v_fmac_f32_e32 v39, v37, v40
	;; [unrolled: 2-line block ×3, first 2 shown]
	ds_write2_b64 v56, v[30:31], v[38:39] offset0:22 offset1:33
	ds_write_b64 v56, v[40:41] offset:352
	s_waitcnt lgkmcnt(0)
	s_barrier
	ds_read2_b64 v[34:37], v56 offset1:11
	ds_read2_b64 v[60:63], v56 offset0:22 offset1:33
	ds_read_b64 v[20:21], v56 offset:352
	s_waitcnt lgkmcnt(0)
	s_barrier
	v_add_f32_e32 v30, v34, v36
	v_add_f32_e32 v31, v60, v62
	;; [unrolled: 1-line block ×3, first 2 shown]
	v_sub_f32_e32 v41, v60, v36
	v_sub_f32_e32 v65, v62, v20
	v_add_f32_e32 v67, v61, v63
	v_add_f32_e32 v71, v37, v21
	v_sub_f32_e32 v58, v37, v21
	v_sub_f32_e32 v38, v36, v60
	;; [unrolled: 1-line block ×3, first 2 shown]
	v_add_f32_e32 v66, v35, v37
	v_sub_f32_e32 v68, v36, v20
	v_sub_f32_e32 v69, v60, v62
	;; [unrolled: 1-line block ×6, first 2 shown]
	v_add_f32_e32 v60, v30, v60
	v_fma_f32 v30, -0.5, v31, v34
	v_fma_f32 v40, -0.5, v40, v34
	v_add_f32_e32 v65, v41, v65
	v_fma_f32 v31, -0.5, v67, v35
	v_fma_f32 v41, -0.5, v71, v35
	v_sub_f32_e32 v64, v61, v63
	v_add_f32_e32 v73, v38, v39
	v_add_f32_e32 v34, v66, v61
	;; [unrolled: 1-line block ×4, first 2 shown]
	v_mov_b32_e32 v36, v30
	v_mov_b32_e32 v38, v40
	;; [unrolled: 1-line block ×4, first 2 shown]
	v_fmac_f32_e32 v30, 0x3f737871, v58
	v_fmac_f32_e32 v40, 0xbf737871, v64
	;; [unrolled: 1-line block ×8, first 2 shown]
	v_add_f32_e32 v35, v60, v62
	v_add_f32_e32 v60, v34, v63
	v_fmac_f32_e32 v30, 0x3f167918, v64
	v_fmac_f32_e32 v40, 0x3f167918, v58
	;; [unrolled: 1-line block ×8, first 2 shown]
	v_add_f32_e32 v34, v35, v20
	v_add_f32_e32 v35, v60, v21
	v_fmac_f32_e32 v30, 0x3e9e377a, v73
	v_fmac_f32_e32 v40, 0x3e9e377a, v65
	;; [unrolled: 1-line block ×8, first 2 shown]
	ds_write2_b64 v59, v[34:35], v[36:37] offset1:1
	ds_write2_b64 v59, v[38:39], v[40:41] offset0:2 offset1:3
	ds_write_b64 v59, v[30:31] offset:32
	s_waitcnt lgkmcnt(0)
	s_barrier
	s_and_saveexec_b64 s[6:7], vcc
	s_cbranch_execz .LBB0_7
; %bb.6:
	ds_read2_b64 v[34:37], v56 offset1:5
	ds_read2_b64 v[38:41], v56 offset0:10 offset1:15
	ds_read2_b64 v[30:33], v56 offset0:20 offset1:25
	;; [unrolled: 1-line block ×4, first 2 shown]
	ds_read_b64 v[53:54], v56 offset:400
.LBB0_7:
	s_or_b64 exec, exec, s[6:7]
	s_and_saveexec_b64 s[6:7], vcc
	s_cbranch_execz .LBB0_9
; %bb.8:
	s_waitcnt lgkmcnt(0)
	v_mul_f32_e32 v20, v19, v53
	v_mul_f32_e32 v21, v13, v36
	;; [unrolled: 1-line block ×3, first 2 shown]
	v_fma_f32 v20, v18, v54, -v20
	v_fma_f32 v21, v12, v37, -v21
	v_fmac_f32_e32 v13, v12, v36
	v_mul_f32_e32 v12, v19, v54
	v_mul_f32_e32 v19, v17, v24
	;; [unrolled: 1-line block ×3, first 2 shown]
	v_add_f32_e32 v58, v20, v21
	v_fma_f32 v19, v16, v25, -v19
	v_fma_f32 v37, v14, v39, -v37
	v_mul_f32_e32 v15, v15, v39
	v_mul_f32_e32 v59, 0xbf75a155, v58
	v_fmac_f32_e32 v12, v18, v53
	v_add_f32_e32 v53, v19, v37
	v_fmac_f32_e32 v15, v14, v38
	v_mul_f32_e32 v14, v17, v25
	v_sub_f32_e32 v36, v13, v12
	v_mov_b32_e32 v18, v59
	v_mul_f32_e32 v54, 0x3f575c64, v53
	v_fmac_f32_e32 v14, v16, v24
	v_fmac_f32_e32 v18, 0x3e903f40, v36
	v_sub_f32_e32 v24, v15, v14
	v_mov_b32_e32 v16, v54
	v_add_f32_e32 v18, v35, v18
	v_fmac_f32_e32 v16, 0xbf0a6770, v24
	v_add_f32_e32 v16, v16, v18
	v_mul_f32_e32 v17, v7, v22
	v_mul_f32_e32 v18, v9, v40
	v_fma_f32 v17, v6, v23, -v17
	v_fma_f32 v18, v8, v41, -v18
	v_add_f32_e32 v25, v17, v18
	v_mul_f32_e32 v39, v9, v41
	v_mul_f32_e32 v23, v7, v23
	;; [unrolled: 1-line block ×3, first 2 shown]
	v_fmac_f32_e32 v39, v8, v40
	v_fmac_f32_e32 v23, v6, v22
	v_sub_f32_e32 v22, v39, v23
	v_mov_b32_e32 v6, v38
	v_fmac_f32_e32 v6, 0x3f4178ce, v22
	v_mul_f32_e32 v7, v5, v28
	v_add_f32_e32 v6, v6, v16
	v_fma_f32 v16, v4, v29, -v7
	v_mul_f32_e32 v7, v11, v30
	v_fma_f32 v40, v10, v31, -v7
	v_mul_f32_e32 v31, v11, v31
	v_fmac_f32_e32 v31, v10, v30
	v_mul_f32_e32 v10, v5, v29
	v_mul_f32_e32 v5, v3, v26
	v_fma_f32 v11, v2, v27, -v5
	v_mul_f32_e32 v5, v1, v32
	v_add_f32_e32 v8, v16, v40
	v_fma_f32 v29, v0, v33, -v5
	v_mul_f32_e32 v41, 0x3ed4b147, v8
	v_fmac_f32_e32 v10, v4, v28
	v_add_f32_e32 v9, v11, v29
	v_mul_f32_e32 v33, v1, v33
	v_mul_f32_e32 v27, v3, v27
	v_sub_f32_e32 v28, v31, v10
	v_mov_b32_e32 v4, v41
	v_mul_f32_e32 v30, 0xbe11bafb, v9
	v_fmac_f32_e32 v33, v0, v32
	v_fmac_f32_e32 v27, v2, v26
	;; [unrolled: 1-line block ×3, first 2 shown]
	v_sub_f32_e32 v26, v33, v27
	v_mov_b32_e32 v0, v30
	v_sub_f32_e32 v60, v21, v20
	v_add_f32_e32 v4, v4, v6
	v_fmac_f32_e32 v0, 0x3f7d64f0, v26
	v_mul_f32_e32 v61, 0xbe903f40, v60
	v_sub_f32_e32 v63, v37, v19
	v_add_f32_e32 v1, v0, v4
	v_add_f32_e32 v32, v12, v13
	v_mov_b32_e32 v0, v61
	v_mul_f32_e32 v64, 0x3f0a6770, v63
	v_fmac_f32_e32 v0, 0xbf75a155, v32
	v_add_f32_e32 v62, v14, v15
	v_mov_b32_e32 v2, v64
	v_sub_f32_e32 v66, v18, v17
	v_add_f32_e32 v0, v34, v0
	v_fmac_f32_e32 v2, 0x3f575c64, v62
	v_mul_f32_e32 v67, 0xbf4178ce, v66
	v_add_f32_e32 v0, v2, v0
	v_add_f32_e32 v65, v23, v39
	v_mov_b32_e32 v2, v67
	v_sub_f32_e32 v69, v40, v16
	v_fmac_f32_e32 v2, 0xbf27a4f4, v65
	v_mul_f32_e32 v70, 0x3f68dda4, v69
	v_add_f32_e32 v0, v2, v0
	v_add_f32_e32 v68, v10, v31
	v_mov_b32_e32 v2, v70
	v_sub_f32_e32 v72, v29, v11
	v_fmac_f32_e32 v2, 0x3ed4b147, v68
	v_mul_f32_e32 v73, 0xbf7d64f0, v72
	v_add_f32_e32 v0, v2, v0
	v_add_f32_e32 v71, v27, v33
	v_mov_b32_e32 v2, v73
	v_fmac_f32_e32 v2, 0xbe11bafb, v71
	v_mul_f32_e32 v74, 0xbf27a4f4, v58
	v_add_f32_e32 v0, v2, v0
	v_mov_b32_e32 v2, v74
	v_mul_f32_e32 v75, 0xbe11bafb, v53
	v_fmac_f32_e32 v2, 0x3f4178ce, v36
	v_mov_b32_e32 v3, v75
	v_add_f32_e32 v2, v35, v2
	v_fmac_f32_e32 v3, 0xbf7d64f0, v24
	v_mul_f32_e32 v76, 0x3f575c64, v25
	v_add_f32_e32 v2, v3, v2
	v_mov_b32_e32 v3, v76
	v_fmac_f32_e32 v3, 0x3f0a6770, v22
	v_mul_f32_e32 v77, 0xbf75a155, v8
	v_add_f32_e32 v2, v3, v2
	v_mov_b32_e32 v3, v77
	v_fmac_f32_e32 v3, 0x3e903f40, v28
	v_mul_f32_e32 v78, 0x3ed4b147, v9
	v_add_f32_e32 v2, v3, v2
	v_mov_b32_e32 v3, v78
	v_fmac_f32_e32 v3, 0xbf68dda4, v26
	v_mul_f32_e32 v79, 0xbf4178ce, v60
	v_add_f32_e32 v3, v3, v2
	v_mov_b32_e32 v2, v79
	v_mul_f32_e32 v80, 0x3f7d64f0, v63
	v_fmac_f32_e32 v2, 0xbf27a4f4, v32
	v_mov_b32_e32 v4, v80
	v_add_f32_e32 v2, v34, v2
	v_fmac_f32_e32 v4, 0xbe11bafb, v62
	v_mul_f32_e32 v81, 0xbf0a6770, v66
	v_add_f32_e32 v2, v4, v2
	v_mov_b32_e32 v4, v81
	v_fmac_f32_e32 v4, 0x3f575c64, v65
	v_mul_f32_e32 v82, 0xbe903f40, v69
	v_add_f32_e32 v2, v4, v2
	v_mov_b32_e32 v4, v82
	v_fmac_f32_e32 v4, 0xbf75a155, v68
	v_mul_f32_e32 v83, 0x3f68dda4, v72
	;; [unrolled: 20-line block ×3, first 2 shown]
	v_add_f32_e32 v13, v34, v13
	v_add_f32_e32 v4, v5, v4
	v_mov_b32_e32 v5, v88
	v_add_f32_e32 v13, v15, v13
	v_fmac_f32_e32 v5, 0x3f4178ce, v26
	v_mul_f32_e32 v89, 0xbf7d64f0, v60
	v_add_f32_e32 v13, v39, v13
	v_add_f32_e32 v5, v5, v4
	v_mov_b32_e32 v4, v89
	v_mul_f32_e32 v90, 0x3e903f40, v63
	v_add_f32_e32 v13, v31, v13
	v_fmac_f32_e32 v4, 0xbe11bafb, v32
	v_mov_b32_e32 v6, v90
	v_add_f32_e32 v13, v33, v13
	v_add_f32_e32 v4, v34, v4
	v_fmac_f32_e32 v6, 0xbf75a155, v62
	v_mul_f32_e32 v91, 0x3f68dda4, v66
	v_add_f32_e32 v13, v27, v13
	v_add_f32_e32 v4, v6, v4
	v_mov_b32_e32 v6, v91
	v_add_f32_e32 v10, v10, v13
	v_fmac_f32_e32 v6, 0x3ed4b147, v65
	v_mul_f32_e32 v92, 0xbf0a6770, v69
	v_add_f32_e32 v10, v23, v10
	v_add_f32_e32 v4, v6, v4
	v_mov_b32_e32 v6, v92
	v_add_f32_e32 v10, v14, v10
	v_fmac_f32_e32 v59, 0xbe903f40, v36
	v_fmac_f32_e32 v6, 0x3f575c64, v68
	v_mul_f32_e32 v93, 0xbf4178ce, v72
	v_add_f32_e32 v10, v12, v10
	v_add_f32_e32 v12, v35, v59
	v_fmac_f32_e32 v54, 0x3f0a6770, v24
	v_add_f32_e32 v4, v6, v4
	v_mov_b32_e32 v6, v93
	v_add_f32_e32 v12, v54, v12
	v_fmac_f32_e32 v38, 0xbf4178ce, v22
	v_fmac_f32_e32 v6, 0xbf27a4f4, v71
	v_mul_f32_e32 v94, 0x3ed4b147, v58
	v_add_f32_e32 v12, v38, v12
	v_fmac_f32_e32 v41, 0x3f68dda4, v28
	s_mov_b32 s8, 0xbf75a155
	v_add_f32_e32 v4, v6, v4
	v_mov_b32_e32 v6, v94
	v_mul_f32_e32 v95, 0xbf27a4f4, v53
	v_add_f32_e32 v12, v41, v12
	v_fmac_f32_e32 v30, 0xbf7d64f0, v26
	s_mov_b32 s9, 0x3f575c64
	v_fmac_f32_e32 v6, 0x3f68dda4, v36
	v_mov_b32_e32 v7, v95
	v_add_f32_e32 v13, v30, v12
	v_fma_f32 v12, v32, s8, -v61
	v_add_f32_e32 v6, v35, v6
	v_fmac_f32_e32 v7, 0x3f4178ce, v24
	v_mul_f32_e32 v96, 0xbf75a155, v25
	v_add_f32_e32 v12, v34, v12
	v_fma_f32 v14, v62, s9, -v64
	s_mov_b32 s11, 0x3ed4b147
	v_add_f32_e32 v6, v7, v6
	v_mov_b32_e32 v7, v96
	v_add_f32_e32 v12, v14, v12
	v_fma_f32 v14, v65, s10, -v67
	s_mov_b32 s12, 0xbe11bafb
	v_fmac_f32_e32 v7, 0xbe903f40, v22
	v_mul_f32_e32 v97, 0xbe11bafb, v8
	v_add_f32_e32 v12, v14, v12
	v_fma_f32 v14, v68, s11, -v70
	v_add_f32_e32 v6, v7, v6
	v_mov_b32_e32 v7, v97
	v_add_f32_e32 v21, v21, v35
	v_add_f32_e32 v12, v14, v12
	v_fma_f32 v14, v71, s12, -v73
	v_fmac_f32_e32 v74, 0xbf4178ce, v36
	v_fmac_f32_e32 v7, 0xbf7d64f0, v28
	v_mul_f32_e32 v98, 0x3f575c64, v9
	v_add_f32_e32 v21, v37, v21
	v_add_f32_e32 v12, v14, v12
	;; [unrolled: 1-line block ×3, first 2 shown]
	v_fmac_f32_e32 v75, 0x3f7d64f0, v24
	v_add_f32_e32 v6, v7, v6
	v_mov_b32_e32 v7, v98
	v_add_f32_e32 v18, v18, v21
	v_add_f32_e32 v14, v75, v14
	v_fmac_f32_e32 v76, 0xbf0a6770, v22
	v_fmac_f32_e32 v7, 0xbf0a6770, v26
	v_mul_f32_e32 v99, 0xbf68dda4, v60
	v_add_f32_e32 v18, v40, v18
	v_add_f32_e32 v14, v76, v14
	v_fmac_f32_e32 v77, 0xbe903f40, v28
	v_add_f32_e32 v7, v7, v6
	v_mov_b32_e32 v6, v99
	v_mul_f32_e32 v100, 0xbf4178ce, v63
	v_add_f32_e32 v18, v29, v18
	v_add_f32_e32 v14, v77, v14
	v_fmac_f32_e32 v78, 0x3f68dda4, v26
	v_fmac_f32_e32 v6, 0x3ed4b147, v32
	v_mov_b32_e32 v101, v100
	v_add_f32_e32 v11, v11, v18
	v_add_f32_e32 v15, v78, v14
	v_fma_f32 v14, v32, s10, -v79
	v_add_f32_e32 v6, v34, v6
	v_fmac_f32_e32 v101, 0xbf27a4f4, v62
	v_add_f32_e32 v11, v16, v11
	v_add_f32_e32 v14, v34, v14
	v_fma_f32 v16, v62, s12, -v80
	v_add_f32_e32 v6, v101, v6
	v_mul_f32_e32 v101, 0x3e903f40, v66
	v_add_f32_e32 v14, v16, v14
	v_fma_f32 v16, v65, s9, -v81
	v_mov_b32_e32 v102, v101
	v_add_f32_e32 v14, v16, v14
	v_fma_f32 v16, v68, s8, -v82
	v_fmac_f32_e32 v102, 0xbf75a155, v65
	v_add_f32_e32 v14, v16, v14
	v_fma_f32 v16, v71, s11, -v83
	v_fmac_f32_e32 v84, 0xbf7d64f0, v36
	v_add_f32_e32 v6, v102, v6
	v_mul_f32_e32 v102, 0x3f7d64f0, v69
	v_add_f32_e32 v14, v16, v14
	v_add_f32_e32 v16, v35, v84
	v_fmac_f32_e32 v85, 0x3e903f40, v24
	v_mov_b32_e32 v103, v102
	v_add_f32_e32 v16, v85, v16
	v_fmac_f32_e32 v86, 0x3f68dda4, v22
	v_fmac_f32_e32 v103, 0xbe11bafb, v68
	v_add_f32_e32 v16, v86, v16
	v_fmac_f32_e32 v87, 0xbf0a6770, v28
	v_add_f32_e32 v6, v103, v6
	v_mul_f32_e32 v103, 0x3f0a6770, v72
	v_add_f32_e32 v16, v87, v16
	v_fmac_f32_e32 v88, 0xbf4178ce, v26
	v_mov_b32_e32 v104, v103
	v_add_f32_e32 v11, v17, v11
	v_add_f32_e32 v17, v88, v16
	v_fma_f32 v16, v32, s12, -v89
	v_fmac_f32_e32 v104, 0x3f575c64, v71
	v_mul_f32_e32 v58, 0x3f575c64, v58
	v_add_f32_e32 v16, v34, v16
	v_fma_f32 v18, v62, s8, -v90
	v_add_f32_e32 v6, v104, v6
	v_mov_b32_e32 v104, v58
	v_mul_f32_e32 v53, 0x3ed4b147, v53
	v_add_f32_e32 v16, v18, v16
	v_fma_f32 v18, v65, s11, -v91
	v_fmac_f32_e32 v104, 0x3f0a6770, v36
	v_mov_b32_e32 v105, v53
	v_add_f32_e32 v16, v18, v16
	v_fma_f32 v18, v68, s9, -v92
	v_add_f32_e32 v104, v35, v104
	v_fmac_f32_e32 v105, 0x3f68dda4, v24
	v_mul_f32_e32 v25, 0xbe11bafb, v25
	v_add_f32_e32 v16, v18, v16
	v_fma_f32 v18, v71, s10, -v93
	v_fmac_f32_e32 v94, 0xbf68dda4, v36
	v_add_f32_e32 v104, v105, v104
	v_mov_b32_e32 v105, v25
	v_add_f32_e32 v16, v18, v16
	v_add_f32_e32 v18, v35, v94
	v_fmac_f32_e32 v95, 0xbf4178ce, v24
	v_fmac_f32_e32 v105, 0x3f7d64f0, v22
	v_add_f32_e32 v18, v95, v18
	v_fmac_f32_e32 v96, 0x3e903f40, v22
	v_add_f32_e32 v104, v105, v104
	v_mul_f32_e32 v105, 0xbf27a4f4, v8
	v_add_f32_e32 v18, v96, v18
	v_fmac_f32_e32 v97, 0x3f7d64f0, v28
	v_mov_b32_e32 v8, v105
	v_add_f32_e32 v18, v97, v18
	v_fmac_f32_e32 v98, 0x3f0a6770, v26
	v_fmac_f32_e32 v8, 0x3f4178ce, v28
	v_add_f32_e32 v11, v19, v11
	v_add_f32_e32 v19, v98, v18
	v_fma_f32 v18, v32, s11, -v99
	v_add_f32_e32 v8, v8, v104
	v_mul_f32_e32 v104, 0xbf75a155, v9
	v_add_f32_e32 v11, v20, v11
	v_add_f32_e32 v18, v34, v18
	v_fma_f32 v20, v62, s10, -v100
	v_mov_b32_e32 v9, v104
	v_add_f32_e32 v18, v20, v18
	v_fma_f32 v20, v65, s8, -v101
	v_fmac_f32_e32 v9, 0x3e903f40, v26
	v_mul_f32_e32 v60, 0xbf0a6770, v60
	v_add_f32_e32 v18, v20, v18
	v_fma_f32 v20, v68, s12, -v102
	v_add_f32_e32 v9, v9, v8
	v_mov_b32_e32 v8, v60
	v_mul_f32_e32 v63, 0xbf68dda4, v63
	v_add_f32_e32 v18, v20, v18
	v_fma_f32 v20, v71, s9, -v103
	v_fmac_f32_e32 v58, 0xbf0a6770, v36
	v_fmac_f32_e32 v8, 0x3f575c64, v32
	v_mov_b32_e32 v106, v63
	v_add_f32_e32 v18, v20, v18
	v_add_f32_e32 v20, v35, v58
	v_fmac_f32_e32 v53, 0xbf68dda4, v24
	v_add_f32_e32 v8, v34, v8
	v_fmac_f32_e32 v106, 0x3ed4b147, v62
	v_mul_f32_e32 v66, 0xbf7d64f0, v66
	v_add_f32_e32 v20, v53, v20
	v_fmac_f32_e32 v25, 0xbf7d64f0, v22
	v_add_f32_e32 v8, v106, v8
	v_mov_b32_e32 v106, v66
	v_add_f32_e32 v20, v25, v20
	v_fmac_f32_e32 v105, 0xbf4178ce, v28
	v_fmac_f32_e32 v106, 0xbe11bafb, v65
	v_mul_f32_e32 v69, 0xbf4178ce, v69
	v_add_f32_e32 v20, v105, v20
	v_fmac_f32_e32 v104, 0xbe903f40, v26
	v_add_f32_e32 v8, v106, v8
	v_mov_b32_e32 v106, v69
	v_add_f32_e32 v21, v104, v20
	v_fma_f32 v20, v32, s9, -v60
	v_fmac_f32_e32 v106, 0xbf27a4f4, v68
	v_mul_f32_e32 v72, 0xbe903f40, v72
	v_add_f32_e32 v20, v34, v20
	v_fma_f32 v22, v62, s11, -v63
	v_add_f32_e32 v8, v106, v8
	v_mov_b32_e32 v106, v72
	v_add_f32_e32 v20, v22, v20
	v_fma_f32 v22, v65, s12, -v66
	v_fmac_f32_e32 v106, 0xbf75a155, v71
	v_add_f32_e32 v20, v22, v20
	v_fma_f32 v22, v68, s10, -v69
	v_add_f32_e32 v8, v106, v8
	v_add_f32_e32 v20, v22, v20
	v_fma_f32 v22, v71, s8, -v72
	ds_write_b64 v56, v[10:11]
	v_lshl_add_u32 v10, v55, 3, v57
	v_add_f32_e32 v20, v22, v20
	ds_write2_b64 v10, v[8:9], v[6:7] offset0:5 offset1:10
	ds_write2_b64 v10, v[4:5], v[2:3] offset0:15 offset1:20
	;; [unrolled: 1-line block ×5, first 2 shown]
.LBB0_9:
	s_or_b64 exec, exec, s[6:7]
	s_waitcnt lgkmcnt(0)
	s_barrier
	ds_read2_b64 v[0:3], v56 offset1:11
	v_mad_u64_u32 v[4:5], s[6:7], s2, v42, 0
	s_mov_b32 s6, 0x29e4129e
	s_mov_b32 s7, 0x3f929e41
	s_waitcnt lgkmcnt(0)
	v_mul_f32_e32 v6, v52, v1
	v_fmac_f32_e32 v6, v51, v0
	v_cvt_f64_f32_e32 v[6:7], v6
	v_mul_f32_e32 v0, v52, v0
	v_fma_f32 v0, v51, v1, -v0
	v_cvt_f64_f32_e32 v[0:1], v0
	v_mul_f64 v[6:7], v[6:7], s[6:7]
	v_mad_u64_u32 v[8:9], s[8:9], s0, v55, 0
	v_mul_f64 v[0:1], v[0:1], s[6:7]
	v_mad_u64_u32 v[10:11], s[2:3], s3, v42, v[5:6]
	v_mov_b32_e32 v5, v9
	v_mad_u64_u32 v[11:12], s[2:3], s1, v55, v[5:6]
	v_mov_b32_e32 v5, v10
	v_cvt_f32_f64_e32 v6, v[6:7]
	v_cvt_f32_f64_e32 v7, v[0:1]
	v_lshlrev_b64 v[0:1], 3, v[4:5]
	v_mul_f32_e32 v4, v50, v3
	v_fmac_f32_e32 v4, v49, v2
	v_mul_f32_e32 v2, v50, v2
	v_fma_f32 v2, v49, v3, -v2
	v_mov_b32_e32 v9, v11
	v_mov_b32_e32 v10, s5
	v_cvt_f64_f32_e32 v[2:3], v2
	v_add_co_u32_e32 v11, vcc, s4, v0
	v_addc_co_u32_e32 v12, vcc, v10, v1, vcc
	v_lshlrev_b64 v[0:1], 3, v[8:9]
	v_mul_f64 v[8:9], v[2:3], s[6:7]
	v_add_co_u32_e32 v10, vcc, v11, v0
	v_addc_co_u32_e32 v11, vcc, v12, v1, vcc
	ds_read2_b64 v[0:3], v56 offset0:22 offset1:33
	v_cvt_f64_f32_e32 v[4:5], v4
	global_store_dwordx2 v[10:11], v[6:7], off
	s_mulk_i32 s1, 0x58
	s_mul_hi_u32 s2, s0, 0x58
	s_waitcnt lgkmcnt(0)
	v_mul_f32_e32 v6, v48, v1
	v_fmac_f32_e32 v6, v47, v0
	v_mul_f32_e32 v0, v48, v0
	v_fma_f32 v0, v47, v1, -v0
	v_mul_f64 v[4:5], v[4:5], s[6:7]
	v_cvt_f64_f32_e32 v[0:1], v0
	v_cvt_f64_f32_e32 v[6:7], v6
	s_add_i32 s1, s2, s1
	s_mulk_i32 s0, 0x58
	v_mul_f64 v[0:1], v[0:1], s[6:7]
	v_mul_f64 v[6:7], v[6:7], s[6:7]
	v_cvt_f32_f64_e32 v4, v[4:5]
	v_cvt_f32_f64_e32 v5, v[8:9]
	v_mov_b32_e32 v9, s1
	v_add_co_u32_e32 v8, vcc, s0, v10
	v_addc_co_u32_e32 v9, vcc, v11, v9, vcc
	global_store_dwordx2 v[8:9], v[4:5], off
	v_cvt_f32_f64_e32 v5, v[0:1]
	v_mul_f32_e32 v0, v46, v3
	v_fmac_f32_e32 v0, v45, v2
	v_mul_f32_e32 v2, v46, v2
	v_fma_f32 v2, v45, v3, -v2
	v_cvt_f32_f64_e32 v4, v[6:7]
	v_cvt_f64_f32_e32 v[0:1], v0
	v_cvt_f64_f32_e32 v[2:3], v2
	ds_read_b64 v[6:7], v56 offset:352
	v_mov_b32_e32 v10, s1
	v_add_co_u32_e32 v8, vcc, s0, v8
	v_addc_co_u32_e32 v9, vcc, v9, v10, vcc
	v_mul_f64 v[0:1], v[0:1], s[6:7]
	v_mul_f64 v[2:3], v[2:3], s[6:7]
	global_store_dwordx2 v[8:9], v[4:5], off
	s_waitcnt lgkmcnt(0)
	v_mul_f32_e32 v4, v44, v7
	v_fmac_f32_e32 v4, v43, v6
	v_mul_f32_e32 v6, v44, v6
	v_fma_f32 v6, v43, v7, -v6
	v_cvt_f64_f32_e32 v[4:5], v4
	v_cvt_f64_f32_e32 v[6:7], v6
	v_cvt_f32_f64_e32 v0, v[0:1]
	v_cvt_f32_f64_e32 v1, v[2:3]
	v_mul_f64 v[2:3], v[4:5], s[6:7]
	v_mul_f64 v[4:5], v[6:7], s[6:7]
	v_mov_b32_e32 v7, s1
	v_add_co_u32_e32 v6, vcc, s0, v8
	v_addc_co_u32_e32 v7, vcc, v9, v7, vcc
	global_store_dwordx2 v[6:7], v[0:1], off
	v_cvt_f32_f64_e32 v0, v[2:3]
	v_cvt_f32_f64_e32 v1, v[4:5]
	v_mov_b32_e32 v3, s1
	v_add_co_u32_e32 v2, vcc, s0, v6
	v_addc_co_u32_e32 v3, vcc, v7, v3, vcc
	global_store_dwordx2 v[2:3], v[0:1], off
.LBB0_10:
	s_endpgm
	.section	.rodata,"a",@progbits
	.p2align	6, 0x0
	.amdhsa_kernel bluestein_single_back_len55_dim1_sp_op_CI_CI
		.amdhsa_group_segment_fixed_size 10120
		.amdhsa_private_segment_fixed_size 0
		.amdhsa_kernarg_size 104
		.amdhsa_user_sgpr_count 6
		.amdhsa_user_sgpr_private_segment_buffer 1
		.amdhsa_user_sgpr_dispatch_ptr 0
		.amdhsa_user_sgpr_queue_ptr 0
		.amdhsa_user_sgpr_kernarg_segment_ptr 1
		.amdhsa_user_sgpr_dispatch_id 0
		.amdhsa_user_sgpr_flat_scratch_init 0
		.amdhsa_user_sgpr_private_segment_size 0
		.amdhsa_uses_dynamic_stack 0
		.amdhsa_system_sgpr_private_segment_wavefront_offset 0
		.amdhsa_system_sgpr_workgroup_id_x 1
		.amdhsa_system_sgpr_workgroup_id_y 0
		.amdhsa_system_sgpr_workgroup_id_z 0
		.amdhsa_system_sgpr_workgroup_info 0
		.amdhsa_system_vgpr_workitem_id 0
		.amdhsa_next_free_vgpr 148
		.amdhsa_next_free_sgpr 20
		.amdhsa_reserve_vcc 1
		.amdhsa_reserve_flat_scratch 0
		.amdhsa_float_round_mode_32 0
		.amdhsa_float_round_mode_16_64 0
		.amdhsa_float_denorm_mode_32 3
		.amdhsa_float_denorm_mode_16_64 3
		.amdhsa_dx10_clamp 1
		.amdhsa_ieee_mode 1
		.amdhsa_fp16_overflow 0
		.amdhsa_exception_fp_ieee_invalid_op 0
		.amdhsa_exception_fp_denorm_src 0
		.amdhsa_exception_fp_ieee_div_zero 0
		.amdhsa_exception_fp_ieee_overflow 0
		.amdhsa_exception_fp_ieee_underflow 0
		.amdhsa_exception_fp_ieee_inexact 0
		.amdhsa_exception_int_div_zero 0
	.end_amdhsa_kernel
	.text
.Lfunc_end0:
	.size	bluestein_single_back_len55_dim1_sp_op_CI_CI, .Lfunc_end0-bluestein_single_back_len55_dim1_sp_op_CI_CI
                                        ; -- End function
	.section	.AMDGPU.csdata,"",@progbits
; Kernel info:
; codeLenInByte = 6948
; NumSgprs: 24
; NumVgprs: 148
; ScratchSize: 0
; MemoryBound: 0
; FloatMode: 240
; IeeeMode: 1
; LDSByteSize: 10120 bytes/workgroup (compile time only)
; SGPRBlocks: 2
; VGPRBlocks: 36
; NumSGPRsForWavesPerEU: 24
; NumVGPRsForWavesPerEU: 148
; Occupancy: 1
; WaveLimiterHint : 1
; COMPUTE_PGM_RSRC2:SCRATCH_EN: 0
; COMPUTE_PGM_RSRC2:USER_SGPR: 6
; COMPUTE_PGM_RSRC2:TRAP_HANDLER: 0
; COMPUTE_PGM_RSRC2:TGID_X_EN: 1
; COMPUTE_PGM_RSRC2:TGID_Y_EN: 0
; COMPUTE_PGM_RSRC2:TGID_Z_EN: 0
; COMPUTE_PGM_RSRC2:TIDIG_COMP_CNT: 0
	.type	__hip_cuid_2cf481259329d38f,@object ; @__hip_cuid_2cf481259329d38f
	.section	.bss,"aw",@nobits
	.globl	__hip_cuid_2cf481259329d38f
__hip_cuid_2cf481259329d38f:
	.byte	0                               ; 0x0
	.size	__hip_cuid_2cf481259329d38f, 1

	.ident	"AMD clang version 19.0.0git (https://github.com/RadeonOpenCompute/llvm-project roc-6.4.0 25133 c7fe45cf4b819c5991fe208aaa96edf142730f1d)"
	.section	".note.GNU-stack","",@progbits
	.addrsig
	.addrsig_sym __hip_cuid_2cf481259329d38f
	.amdgpu_metadata
---
amdhsa.kernels:
  - .args:
      - .actual_access:  read_only
        .address_space:  global
        .offset:         0
        .size:           8
        .value_kind:     global_buffer
      - .actual_access:  read_only
        .address_space:  global
        .offset:         8
        .size:           8
        .value_kind:     global_buffer
      - .actual_access:  read_only
        .address_space:  global
        .offset:         16
        .size:           8
        .value_kind:     global_buffer
      - .actual_access:  read_only
        .address_space:  global
        .offset:         24
        .size:           8
        .value_kind:     global_buffer
      - .actual_access:  read_only
        .address_space:  global
        .offset:         32
        .size:           8
        .value_kind:     global_buffer
      - .offset:         40
        .size:           8
        .value_kind:     by_value
      - .address_space:  global
        .offset:         48
        .size:           8
        .value_kind:     global_buffer
      - .address_space:  global
        .offset:         56
        .size:           8
        .value_kind:     global_buffer
      - .address_space:  global
        .offset:         64
        .size:           8
        .value_kind:     global_buffer
      - .address_space:  global
        .offset:         72
        .size:           8
        .value_kind:     global_buffer
      - .offset:         80
        .size:           4
        .value_kind:     by_value
      - .address_space:  global
        .offset:         88
        .size:           8
        .value_kind:     global_buffer
      - .address_space:  global
        .offset:         96
        .size:           8
        .value_kind:     global_buffer
    .group_segment_fixed_size: 10120
    .kernarg_segment_align: 8
    .kernarg_segment_size: 104
    .language:       OpenCL C
    .language_version:
      - 2
      - 0
    .max_flat_workgroup_size: 253
    .name:           bluestein_single_back_len55_dim1_sp_op_CI_CI
    .private_segment_fixed_size: 0
    .sgpr_count:     24
    .sgpr_spill_count: 0
    .symbol:         bluestein_single_back_len55_dim1_sp_op_CI_CI.kd
    .uniform_work_group_size: 1
    .uses_dynamic_stack: false
    .vgpr_count:     148
    .vgpr_spill_count: 0
    .wavefront_size: 64
amdhsa.target:   amdgcn-amd-amdhsa--gfx906
amdhsa.version:
  - 1
  - 2
...

	.end_amdgpu_metadata
